;; amdgpu-corpus repo=ROCm/rocFFT kind=compiled arch=gfx1030 opt=O3
	.text
	.amdgcn_target "amdgcn-amd-amdhsa--gfx1030"
	.amdhsa_code_object_version 6
	.protected	bluestein_single_back_len384_dim1_dp_op_CI_CI ; -- Begin function bluestein_single_back_len384_dim1_dp_op_CI_CI
	.globl	bluestein_single_back_len384_dim1_dp_op_CI_CI
	.p2align	8
	.type	bluestein_single_back_len384_dim1_dp_op_CI_CI,@function
bluestein_single_back_len384_dim1_dp_op_CI_CI: ; @bluestein_single_back_len384_dim1_dp_op_CI_CI
; %bb.0:
	s_load_dwordx4 s[12:15], s[4:5], 0x28
	v_lshrrev_b32_e32 v48, 5, v0
	v_mov_b32_e32 v157, 0
	s_mov_b32 s0, exec_lo
	v_lshl_or_b32 v156, s6, 2, v48
	s_waitcnt lgkmcnt(0)
	v_cmpx_gt_u64_e64 s[12:13], v[156:157]
	s_cbranch_execz .LBB0_2
; %bb.1:
	s_clause 0x1
	s_load_dwordx4 s[0:3], s[4:5], 0x18
	s_load_dwordx4 s[8:11], s[4:5], 0x0
	v_and_b32_e32 v157, 31, v0
	v_mul_u32_u24_e32 v116, 0x180, v48
	v_lshlrev_b32_e32 v160, 4, v157
	v_or_b32_e32 v161, 0x800, v160
	v_or_b32_e32 v162, 0xc00, v160
	;; [unrolled: 1-line block ×8, first 2 shown]
	s_waitcnt lgkmcnt(0)
	s_load_dwordx4 s[16:19], s[0:1], 0x0
	s_add_u32 s12, s8, 0x1800
	s_addc_u32 s13, s9, 0
	s_clause 0x1
	global_load_dwordx4 v[8:11], v163, s[8:9]
	global_load_dwordx4 v[12:15], v166, s[8:9]
	v_lshl_or_b32 v158, v116, 4, v160
	s_waitcnt lgkmcnt(0)
	v_mad_u64_u32 v[4:5], null, s16, v157, 0
	v_mad_u64_u32 v[0:1], null, s18, v156, 0
	s_lshl_b64 s[0:1], s[16:17], 10
	s_mul_i32 s6, s17, 0xffffee00
	s_sub_i32 s6, s6, s16
	v_mov_b32_e32 v2, v5
	v_mad_u64_u32 v[5:6], null, s19, v156, v[1:2]
	v_mad_u64_u32 v[2:3], null, s17, v157, v[2:3]
	v_mov_b32_e32 v1, v5
	v_mov_b32_e32 v5, v2
	v_lshlrev_b64 v[6:7], 4, v[0:1]
	global_load_dwordx4 v[0:3], v161, s[8:9]
	v_lshlrev_b64 v[4:5], 4, v[4:5]
	v_add_co_u32 v6, vcc_lo, s14, v6
	v_add_co_ci_u32_e32 v7, vcc_lo, s15, v7, vcc_lo
	v_add_co_u32 v28, vcc_lo, v6, v4
	v_add_co_ci_u32_e32 v29, vcc_lo, v7, v5, vcc_lo
	global_load_dwordx4 v[4:7], v162, s[8:9]
	v_add_co_u32 v40, vcc_lo, v28, s0
	v_add_co_ci_u32_e32 v41, vcc_lo, s1, v29, vcc_lo
	s_clause 0x1
	global_load_dwordx4 v[32:35], v160, s[8:9]
	global_load_dwordx4 v[16:19], v160, s[8:9] offset:512
	v_add_co_u32 v42, vcc_lo, v40, s0
	v_add_co_ci_u32_e32 v43, vcc_lo, s1, v41, vcc_lo
	s_clause 0x2
	global_load_dwordx4 v[36:39], v160, s[8:9] offset:1024
	global_load_dwordx4 v[24:27], v160, s[8:9] offset:1536
	global_load_dwordx4 v[20:23], v168, s[8:9]
	v_add_co_u32 v44, vcc_lo, v42, s0
	v_add_co_ci_u32_e32 v45, vcc_lo, s1, v43, vcc_lo
	global_load_dwordx4 v[49:52], v[28:29], off
	global_load_dwordx4 v[28:31], v167, s[8:9]
	v_add_co_u32 v46, vcc_lo, v44, s0
	v_add_co_ci_u32_e32 v47, vcc_lo, s1, v45, vcc_lo
	s_clause 0x2
	global_load_dwordx4 v[53:56], v[40:41], off
	global_load_dwordx4 v[57:60], v[42:43], off
	;; [unrolled: 1-line block ×3, first 2 shown]
	v_add_co_u32 v69, vcc_lo, v46, s0
	v_add_co_ci_u32_e32 v70, vcc_lo, s1, v47, vcc_lo
	global_load_dwordx4 v[65:68], v[46:47], off
	v_mad_u64_u32 v[73:74], null, 0xffffee00, s16, v[69:70]
	global_load_dwordx4 v[69:72], v[69:70], off
	v_add_nc_u32_e32 v74, s6, v74
	v_add_co_u32 v40, vcc_lo, v73, s0
	s_mov_b32 s6, 0xe8584caa
	s_mov_b32 s7, 0x3febb67a
	v_add_co_ci_u32_e32 v41, vcc_lo, s1, v74, vcc_lo
	v_add_co_u32 v42, vcc_lo, v40, s0
	global_load_dwordx4 v[73:76], v[73:74], off
	v_add_co_ci_u32_e32 v43, vcc_lo, s1, v41, vcc_lo
	v_add_co_u32 v44, vcc_lo, v42, s0
	global_load_dwordx4 v[77:80], v[40:41], off
	;; [unrolled: 3-line block ×3, first 2 shown]
	v_add_co_ci_u32_e32 v47, vcc_lo, s1, v45, vcc_lo
	v_add_co_u32 v93, vcc_lo, v46, s0
	v_add_co_ci_u32_e32 v94, vcc_lo, s1, v47, vcc_lo
	global_load_dwordx4 v[85:88], v[44:45], off
	global_load_dwordx4 v[40:43], v165, s[8:9]
	global_load_dwordx4 v[89:92], v[46:47], off
	global_load_dwordx4 v[44:47], v164, s[8:9]
	global_load_dwordx4 v[93:96], v[93:94], off
	s_load_dwordx4 s[0:3], s[2:3], 0x0
	s_mov_b32 s9, 0xbfebb67a
	s_mov_b32 s8, s6
	v_cmp_gt_u32_e32 vcc_lo, 24, v157
	s_waitcnt vmcnt(14)
	v_mul_f64 v[97:98], v[51:52], v[34:35]
	v_mul_f64 v[99:100], v[49:50], v[34:35]
	s_waitcnt vmcnt(12)
	v_mul_f64 v[101:102], v[55:56], v[38:39]
	v_mul_f64 v[103:104], v[53:54], v[38:39]
	;; [unrolled: 3-line block ×5, first 2 shown]
	v_fma_f64 v[48:49], v[49:50], v[32:33], v[97:98]
	v_fma_f64 v[50:51], v[51:52], v[32:33], -v[99:100]
	s_waitcnt vmcnt(8)
	v_mul_f64 v[97:98], v[71:72], v[14:15]
	v_mul_f64 v[99:100], v[69:70], v[14:15]
	v_fma_f64 v[52:53], v[53:54], v[36:37], v[101:102]
	v_fma_f64 v[54:55], v[55:56], v[36:37], -v[103:104]
	v_fma_f64 v[56:57], v[57:58], v[0:1], v[105:106]
	v_fma_f64 v[58:59], v[59:60], v[0:1], -v[107:108]
	v_fma_f64 v[60:61], v[61:62], v[4:5], v[109:110]
	s_waitcnt vmcnt(7)
	v_mul_f64 v[119:120], v[75:76], v[18:19]
	v_mul_f64 v[121:122], v[73:74], v[18:19]
	v_fma_f64 v[62:63], v[63:64], v[4:5], -v[111:112]
	v_fma_f64 v[64:65], v[65:66], v[8:9], v[113:114]
	v_fma_f64 v[66:67], v[67:68], v[8:9], -v[117:118]
	s_waitcnt vmcnt(6)
	v_mul_f64 v[123:124], v[79:80], v[26:27]
	v_mul_f64 v[125:126], v[77:78], v[26:27]
	s_waitcnt vmcnt(5)
	v_mul_f64 v[127:128], v[83:84], v[22:23]
	v_mul_f64 v[129:130], v[81:82], v[22:23]
	;; [unrolled: 3-line block ×5, first 2 shown]
	v_fma_f64 v[68:69], v[69:70], v[12:13], v[97:98]
	v_fma_f64 v[70:71], v[71:72], v[12:13], -v[99:100]
	v_fma_f64 v[72:73], v[73:74], v[16:17], v[119:120]
	v_fma_f64 v[74:75], v[75:76], v[16:17], -v[121:122]
	;; [unrolled: 2-line block ×7, first 2 shown]
	v_or_b32_e32 v96, v116, v157
	v_lshlrev_b32_e32 v159, 4, v96
	ds_write_b128 v159, v[48:51]
	ds_write_b128 v159, v[52:55] offset:1024
	ds_write_b128 v158, v[56:59] offset:2048
	;; [unrolled: 1-line block ×11, first 2 shown]
	s_waitcnt lgkmcnt(0)
	s_barrier
	buffer_gl0_inv
	ds_read_b128 v[48:51], v158 offset:5120
	ds_read_b128 v[52:55], v158 offset:3072
	;; [unrolled: 1-line block ×6, first 2 shown]
	v_mul_lo_u16 v72, v157, 43
	v_or_b32_e32 v88, 32, v157
	v_or_b32_e32 v89, 64, v157
	v_mul_u32_u24_e32 v95, 6, v157
	v_lshrrev_b16 v96, 8, v72
	ds_read_b128 v[72:75], v159
	ds_read_b128 v[76:79], v158 offset:4096
	ds_read_b128 v[80:83], v158 offset:2048
	v_mul_lo_u16 v94, v88, 43
	v_mul_lo_u16 v90, v89, 43
	;; [unrolled: 1-line block ×3, first 2 shown]
	v_add_lshl_u32 v169, v116, v95, 4
	v_mul_u32_u24_e32 v115, 6, v88
	v_lshrrev_b16 v91, 8, v94
	v_mul_lo_u16 v96, v96, 24
	s_waitcnt lgkmcnt(7)
	v_add_f64 v[84:85], v[54:55], v[50:51]
	v_add_f64 v[86:87], v[52:53], v[48:49]
	s_waitcnt lgkmcnt(5)
	v_add_f64 v[92:93], v[62:63], v[58:59]
	v_add_f64 v[101:102], v[60:61], v[56:57]
	v_add_f64 v[105:106], v[54:55], -v[50:51]
	v_add_f64 v[107:108], v[52:53], -v[48:49]
	;; [unrolled: 1-line block ×4, first 2 shown]
	v_mul_lo_u16 v123, v91, 6
	s_waitcnt lgkmcnt(4)
	v_add_f64 v[52:53], v[64:65], v[52:53]
	v_add_f64 v[54:55], v[66:67], v[54:55]
	s_waitcnt lgkmcnt(3)
	v_add_f64 v[60:61], v[68:69], v[60:61]
	s_waitcnt lgkmcnt(0)
	v_add_f64 v[127:128], v[82:83], v[78:79]
	v_sub_nc_u16 v139, v88, v123
	v_add_f64 v[123:124], v[80:81], v[76:77]
	v_add_f64 v[129:130], v[82:83], -v[78:79]
	v_add_f64 v[82:83], v[74:75], v[82:83]
	v_add_f64 v[125:126], v[72:73], v[80:81]
	v_add_f64 v[80:81], v[80:81], -v[76:77]
	v_add_f64 v[62:63], v[70:71], v[62:63]
	v_add_lshl_u32 v170, v116, v115, 4
	v_fma_f64 v[109:110], v[84:85], -0.5, v[66:67]
	v_fma_f64 v[111:112], v[86:87], -0.5, v[64:65]
	;; [unrolled: 1-line block ×4, first 2 shown]
	ds_read_b128 v[84:87], v158 offset:2560
	ds_read_b128 v[97:100], v158 offset:4608
	v_sub_nc_u16 v93, v157, v103
	ds_read_b128 v[101:104], v159 offset:512
	v_lshrrev_b16 v92, 8, v90
	s_waitcnt lgkmcnt(0)
	v_add_f64 v[52:53], v[52:53], v[48:49]
	v_add_f64 v[54:55], v[54:55], v[50:51]
	;; [unrolled: 1-line block ×3, first 2 shown]
	v_mul_lo_u16 v95, v92, 6
	s_barrier
	v_fma_f64 v[68:69], v[123:124], -0.5, v[72:73]
	v_fma_f64 v[72:73], v[127:128], -0.5, v[74:75]
	v_add_f64 v[78:79], v[82:83], v[78:79]
	v_add_f64 v[76:77], v[125:126], v[76:77]
	buffer_gl0_inv
	v_add_f64 v[62:63], v[62:63], v[58:59]
	v_or_b32_e32 v96, v96, v93
	v_fma_f64 v[131:132], v[107:108], s[8:9], v[109:110]
	v_fma_f64 v[133:134], v[105:106], s[8:9], v[111:112]
	v_fma_f64 v[105:106], v[105:106], s[6:7], v[111:112]
	v_fma_f64 v[107:108], v[107:108], s[6:7], v[109:110]
	v_add_f64 v[109:110], v[84:85], v[97:98]
	v_add_f64 v[111:112], v[86:87], v[99:100]
	v_fma_f64 v[135:136], v[117:118], s[8:9], v[119:120]
	v_fma_f64 v[137:138], v[113:114], s[8:9], v[121:122]
	;; [unrolled: 1-line block ×4, first 2 shown]
	v_add_f64 v[64:65], v[101:102], v[84:85]
	v_add_f64 v[66:67], v[103:104], v[86:87]
	v_add_f64 v[70:71], v[86:87], -v[99:100]
	v_add_f64 v[74:75], v[84:85], -v[97:98]
	v_and_or_b32 v96, 0xff, v96, v116
	v_fma_f64 v[125:126], v[80:81], s[8:9], v[72:73]
	v_fma_f64 v[80:81], v[80:81], s[6:7], v[72:73]
	v_add_f64 v[48:49], v[76:77], v[52:53]
	v_add_f64 v[50:51], v[78:79], v[54:55]
	v_add_f64 v[52:53], v[76:77], -v[52:53]
	v_add_f64 v[54:55], v[78:79], -v[54:55]
	v_mul_f64 v[84:85], v[131:132], s[6:7]
	v_mul_f64 v[86:87], v[133:134], -0.5
	v_mul_f64 v[119:120], v[105:106], s[8:9]
	v_mul_f64 v[121:122], v[107:108], -0.5
	v_fma_f64 v[101:102], v[109:110], -0.5, v[101:102]
	v_fma_f64 v[103:104], v[111:112], -0.5, v[103:104]
	v_mul_f64 v[82:83], v[135:136], s[6:7]
	v_mul_f64 v[109:110], v[137:138], -0.5
	v_mul_f64 v[111:112], v[113:114], s[8:9]
	v_mul_f64 v[123:124], v[117:118], -0.5
	v_add_f64 v[64:65], v[64:65], v[97:98]
	v_add_f64 v[66:67], v[66:67], v[99:100]
	v_fma_f64 v[97:98], v[129:130], s[6:7], v[68:69]
	v_fma_f64 v[99:100], v[129:130], s[8:9], v[68:69]
	v_fma_f64 v[72:73], v[105:106], 0.5, v[84:85]
	v_fma_f64 v[84:85], v[107:108], s[6:7], v[86:87]
	v_fma_f64 v[86:87], v[131:132], 0.5, v[119:120]
	v_fma_f64 v[105:106], v[133:134], s[8:9], v[121:122]
	v_fma_f64 v[107:108], v[70:71], s[6:7], v[101:102]
	;; [unrolled: 1-line block ×4, first 2 shown]
	v_fma_f64 v[103:104], v[113:114], 0.5, v[82:83]
	v_fma_f64 v[111:112], v[135:136], 0.5, v[111:112]
	v_fma_f64 v[101:102], v[70:71], s[8:9], v[101:102]
	v_fma_f64 v[109:110], v[117:118], s[6:7], v[109:110]
	;; [unrolled: 1-line block ×3, first 2 shown]
	v_add_f64 v[56:57], v[64:65], v[60:61]
	v_add_f64 v[58:59], v[66:67], v[62:63]
	v_add_f64 v[60:61], v[64:65], -v[60:61]
	v_add_f64 v[62:63], v[66:67], -v[62:63]
	v_and_b32_e32 v117, 0xff, v93
	v_sub_nc_u16 v118, v89, v95
	v_and_b32_e32 v95, 0xff, v139
	v_add_f64 v[64:65], v[97:98], v[72:73]
	v_add_f64 v[68:69], v[99:100], v[84:85]
	;; [unrolled: 1-line block ×4, first 2 shown]
	v_add_f64 v[72:73], v[97:98], -v[72:73]
	v_add_f64 v[74:75], v[125:126], -v[86:87]
	;; [unrolled: 1-line block ×4, first 2 shown]
	v_add_f64 v[80:81], v[107:108], v[103:104]
	v_add_f64 v[82:83], v[119:120], v[111:112]
	;; [unrolled: 1-line block ×4, first 2 shown]
	v_add_f64 v[98:99], v[107:108], -v[103:104]
	v_add_f64 v[102:103], v[101:102], -v[109:110]
	;; [unrolled: 1-line block ×4, first 2 shown]
	v_mad_u64_u32 v[106:107], null, v117, 48, s[10:11]
	v_and_b32_e32 v97, 0xff, v118
	v_mad_u64_u32 v[108:109], null, v95, 48, s[10:11]
	ds_write_b128 v169, v[48:51]
	ds_write_b128 v169, v[52:55] offset:48
	ds_write_b128 v169, v[64:67] offset:16
	;; [unrolled: 1-line block ×5, first 2 shown]
	ds_write_b128 v170, v[56:59]
	ds_write_b128 v170, v[80:83] offset:16
	ds_write_b128 v170, v[84:87] offset:32
	;; [unrolled: 1-line block ×5, first 2 shown]
	s_waitcnt lgkmcnt(0)
	s_barrier
	buffer_gl0_inv
	s_clause 0x1
	global_load_dwordx4 v[68:71], v[106:107], off
	global_load_dwordx4 v[64:67], v[106:107], off offset:16
	v_mad_u64_u32 v[72:73], null, v97, 48, s[10:11]
	s_clause 0x6
	global_load_dwordx4 v[60:63], v[106:107], off offset:32
	global_load_dwordx4 v[56:59], v[108:109], off
	global_load_dwordx4 v[52:55], v[108:109], off offset:16
	global_load_dwordx4 v[48:51], v[108:109], off offset:32
	global_load_dwordx4 v[80:83], v[72:73], off
	global_load_dwordx4 v[76:79], v[72:73], off offset:16
	global_load_dwordx4 v[72:75], v[72:73], off offset:32
	ds_read_b128 v[84:87], v159 offset:1536
	ds_read_b128 v[98:101], v159 offset:3072
	;; [unrolled: 1-line block ×10, first 2 shown]
	ds_read_b128 v[137:140], v159
	ds_read_b128 v[141:144], v159 offset:512
	s_waitcnt vmcnt(0) lgkmcnt(0)
	s_barrier
	buffer_gl0_inv
	v_mul_f64 v[151:152], v[104:105], v[62:63]
	v_mul_f64 v[114:115], v[86:87], v[70:71]
	;; [unrolled: 1-line block ×18, first 2 shown]
	v_fma_f64 v[114:115], v[84:85], v[68:69], -v[114:115]
	v_fma_f64 v[145:146], v[86:87], v[68:69], v[145:146]
	v_fma_f64 v[84:85], v[98:99], v[64:65], -v[147:148]
	v_fma_f64 v[86:87], v[100:101], v[64:65], v[149:150]
	;; [unrolled: 2-line block ×9, first 2 shown]
	v_lshlrev_b32_e32 v173, 4, v96
	v_add_f64 v[84:85], v[137:138], -v[84:85]
	v_add_f64 v[86:87], v[139:140], -v[86:87]
	;; [unrolled: 1-line block ×4, first 2 shown]
	v_subrev_nc_u32_e32 v100, 24, v157
	v_add_f64 v[131:132], v[141:142], -v[106:107]
	v_add_f64 v[147:148], v[143:144], -v[108:109]
	;; [unrolled: 1-line block ×8, first 2 shown]
	v_fma_f64 v[137:138], v[137:138], 2.0, -v[84:85]
	v_fma_f64 v[139:140], v[139:140], 2.0, -v[86:87]
	;; [unrolled: 1-line block ×4, first 2 shown]
	v_add_f64 v[98:99], v[84:85], -v[98:99]
	v_fma_f64 v[114:115], v[141:142], 2.0, -v[131:132]
	v_fma_f64 v[141:142], v[143:144], 2.0, -v[147:148]
	;; [unrolled: 1-line block ×4, first 2 shown]
	v_add_f64 v[102:103], v[131:132], -v[106:107]
	v_fma_f64 v[143:144], v[133:134], 2.0, -v[151:152]
	v_fma_f64 v[145:146], v[135:136], 2.0, -v[153:154]
	;; [unrolled: 1-line block ×4, first 2 shown]
	v_cndmask_b32_e32 v117, v100, v157, vcc_lo
	v_mov_b32_e32 v100, 24
	v_lshrrev_b16 v118, 10, v94
	v_add_f64 v[120:121], v[151:152], -v[124:125]
	v_add_f64 v[122:123], v[153:154], v[122:123]
	v_lshrrev_b16 v119, 10, v90
	v_mul_u32_u24_sdwa v94, v91, v100 dst_sel:DWORD dst_unused:UNUSED_PAD src0_sel:WORD_0 src1_sel:DWORD
	v_mul_u32_u24_sdwa v155, v92, v100 dst_sel:DWORD dst_unused:UNUSED_PAD src0_sel:WORD_0 src1_sel:DWORD
	v_add_f64 v[100:101], v[86:87], v[129:130]
	v_add_f64 v[106:107], v[137:138], -v[108:109]
	v_add_f64 v[108:109], v[139:140], -v[110:111]
	v_mul_i32_i24_e32 v136, 48, v117
	v_mul_lo_u16 v90, v118, 24
	v_mul_lo_u16 v91, v119, 24
	v_add_f64 v[110:111], v[114:115], -v[112:113]
	v_add_f64 v[112:113], v[141:142], -v[104:105]
	v_add_f64 v[104:105], v[147:148], v[149:150]
	v_mul_hi_i32_i24_e32 v135, 48, v117
	v_fma_f64 v[84:85], v[84:85], 2.0, -v[98:99]
	v_add_co_u32 v92, vcc_lo, s10, v136
	v_add_f64 v[126:127], v[143:144], -v[126:127]
	v_add_f64 v[128:129], v[145:146], -v[133:134]
	v_sub_nc_u16 v124, v88, v90
	v_sub_nc_u16 v125, v89, v91
	v_fma_f64 v[88:89], v[131:132], 2.0, -v[102:103]
	v_add_co_ci_u32_e32 v93, vcc_lo, s11, v135, vcc_lo
	v_and_b32_e32 v124, 0xff, v124
	v_or_b32_e32 v94, v94, v95
	v_fma_f64 v[86:87], v[86:87], 2.0, -v[100:101]
	v_fma_f64 v[130:131], v[137:138], 2.0, -v[106:107]
	;; [unrolled: 1-line block ×4, first 2 shown]
	v_or_b32_e32 v95, v155, v97
	v_and_b32_e32 v125, 0xff, v125
	v_fma_f64 v[134:135], v[114:115], 2.0, -v[110:111]
	v_fma_f64 v[136:137], v[141:142], 2.0, -v[112:113]
	;; [unrolled: 1-line block ×4, first 2 shown]
	v_mad_u64_u32 v[114:115], null, v124, 48, s[10:11]
	v_add_lshl_u32 v172, v116, v94, 4
	v_fma_f64 v[142:143], v[143:144], 2.0, -v[126:127]
	v_fma_f64 v[144:145], v[145:146], 2.0, -v[128:129]
	v_add_lshl_u32 v171, v116, v95, 4
	ds_write_b128 v173, v[98:101] offset:288
	ds_write_b128 v173, v[84:87] offset:96
	;; [unrolled: 1-line block ×3, first 2 shown]
	ds_write_b128 v173, v[130:133]
	ds_write_b128 v172, v[134:137]
	ds_write_b128 v172, v[88:91] offset:96
	ds_write_b128 v172, v[110:113] offset:192
	;; [unrolled: 1-line block ×3, first 2 shown]
	ds_write_b128 v171, v[142:145]
	ds_write_b128 v171, v[138:141] offset:96
	ds_write_b128 v171, v[126:129] offset:192
	;; [unrolled: 1-line block ×3, first 2 shown]
	s_waitcnt lgkmcnt(0)
	s_barrier
	buffer_gl0_inv
	s_clause 0x1
	global_load_dwordx4 v[104:107], v[92:93], off offset:288
	global_load_dwordx4 v[100:103], v[92:93], off offset:304
	v_mad_u64_u32 v[120:121], null, v125, 48, s[10:11]
	s_clause 0x6
	global_load_dwordx4 v[96:99], v[92:93], off offset:320
	global_load_dwordx4 v[92:95], v[114:115], off offset:288
	;; [unrolled: 1-line block ×7, first 2 shown]
	ds_read_b128 v[126:129], v159 offset:1536
	ds_read_b128 v[130:133], v159 offset:3072
	;; [unrolled: 1-line block ×10, first 2 shown]
	ds_read_b128 v[186:189], v159
	ds_read_b128 v[190:193], v159 offset:512
	v_cmp_lt_u32_e32 vcc_lo, 23, v157
	s_waitcnt vmcnt(0) lgkmcnt(0)
	s_barrier
	buffer_gl0_inv
	v_mul_f64 v[200:201], v[136:137], v[98:99]
	v_mul_f64 v[154:155], v[128:129], v[106:107]
	;; [unrolled: 1-line block ×18, first 2 shown]
	v_fma_f64 v[134:135], v[134:135], v[96:97], -v[200:201]
	v_fma_f64 v[126:127], v[126:127], v[104:105], -v[154:155]
	v_fma_f64 v[128:129], v[128:129], v[104:105], v[194:195]
	v_fma_f64 v[130:131], v[130:131], v[100:101], -v[196:197]
	v_fma_f64 v[132:133], v[132:133], v[100:101], v[198:199]
	v_fma_f64 v[136:137], v[136:137], v[96:97], v[202:203]
	v_fma_f64 v[138:139], v[138:139], v[92:93], -v[204:205]
	v_fma_f64 v[140:141], v[140:141], v[92:93], v[206:207]
	v_fma_f64 v[142:143], v[142:143], v[88:89], -v[208:209]
	;; [unrolled: 2-line block ×6, first 2 shown]
	v_fma_f64 v[178:179], v[180:181], v[120:121], v[226:227]
	v_mad_u64_u32 v[204:205], null, v157, 48, s[10:11]
	v_add_f64 v[134:135], v[126:127], -v[134:135]
	v_add_f64 v[180:181], v[186:187], -v[130:131]
	;; [unrolled: 1-line block ×12, first 2 shown]
	v_fma_f64 v[132:133], v[126:127], 2.0, -v[134:135]
	v_cndmask_b32_e64 v126, 0, 0x60, vcc_lo
	v_fma_f64 v[175:176], v[186:187], 2.0, -v[180:181]
	v_fma_f64 v[186:187], v[188:189], 2.0, -v[194:195]
	;; [unrolled: 1-line block ×3, first 2 shown]
	v_or_b32_e32 v117, v117, v126
	v_fma_f64 v[188:189], v[190:191], 2.0, -v[196:197]
	v_fma_f64 v[190:191], v[192:193], 2.0, -v[198:199]
	;; [unrolled: 1-line block ×4, first 2 shown]
	v_add_f64 v[126:127], v[180:181], -v[130:131]
	v_add_f64 v[136:137], v[198:199], v[136:137]
	v_fma_f64 v[192:193], v[182:183], 2.0, -v[154:155]
	v_fma_f64 v[202:203], v[184:185], 2.0, -v[200:201]
	;; [unrolled: 1-line block ×4, first 2 shown]
	v_add_f64 v[144:145], v[200:201], v[144:145]
	v_or_b32_e32 v177, v116, v117
	v_add_lshl_u32 v174, v116, v117, 4
	v_add_f64 v[130:131], v[175:176], -v[132:133]
	v_add_f64 v[132:133], v[186:187], -v[128:129]
	v_add_f64 v[128:129], v[194:195], v[134:135]
	v_add_f64 v[134:135], v[196:197], -v[142:143]
	v_add_f64 v[142:143], v[154:155], -v[146:147]
	;; [unrolled: 1-line block ×4, first 2 shown]
	v_fma_f64 v[184:185], v[198:199], 2.0, -v[136:137]
	v_add_f64 v[146:147], v[192:193], -v[148:149]
	v_add_f64 v[148:149], v[202:203], -v[150:151]
	v_mov_b32_e32 v150, 0x60
	v_mul_u32_u24_sdwa v117, v118, v150 dst_sel:DWORD dst_unused:UNUSED_PAD src0_sel:WORD_0 src1_sel:DWORD
	v_mul_u32_u24_sdwa v118, v119, v150 dst_sel:DWORD dst_unused:UNUSED_PAD src0_sel:WORD_0 src1_sel:DWORD
	v_fma_f64 v[150:151], v[180:181], 2.0, -v[126:127]
	v_fma_f64 v[178:179], v[175:176], 2.0, -v[130:131]
	;; [unrolled: 1-line block ×5, first 2 shown]
	v_or_b32_e32 v117, v117, v124
	v_lshlrev_b32_e32 v175, 4, v177
	v_fma_f64 v[186:187], v[188:189], 2.0, -v[138:139]
	v_fma_f64 v[188:189], v[190:191], 2.0, -v[140:141]
	;; [unrolled: 1-line block ×3, first 2 shown]
	v_or_b32_e32 v118, v118, v125
	v_add_co_u32 v124, vcc_lo, 0x800, v204
	v_fma_f64 v[194:195], v[192:193], 2.0, -v[146:147]
	v_fma_f64 v[196:197], v[202:203], 2.0, -v[148:149]
	;; [unrolled: 1-line block ×3, first 2 shown]
	v_add_co_ci_u32_e32 v125, vcc_lo, 0, v205, vcc_lo
	v_add_lshl_u32 v177, v116, v117, 4
	v_add_lshl_u32 v176, v116, v118, 4
	ds_write_b128 v175, v[178:181]
	ds_write_b128 v174, v[150:153] offset:384
	ds_write_b128 v174, v[130:133] offset:768
	ds_write_b128 v174, v[126:129] offset:1152
	ds_write_b128 v177, v[186:189]
	ds_write_b128 v177, v[182:185] offset:384
	ds_write_b128 v177, v[138:141] offset:768
	ds_write_b128 v177, v[134:137] offset:1152
	;; [unrolled: 4-line block ×3, first 2 shown]
	v_add_co_u32 v140, vcc_lo, 0xba0, v204
	v_add_co_ci_u32_e32 v141, vcc_lo, 0, v205, vcc_lo
	v_add_co_u32 v142, vcc_lo, 0x1000, v204
	s_waitcnt lgkmcnt(0)
	s_barrier
	buffer_gl0_inv
	global_load_dwordx4 v[116:119], v[204:205], off offset:1440
	v_add_co_ci_u32_e32 v143, vcc_lo, 0, v205, vcc_lo
	s_clause 0x3
	global_load_dwordx4 v[136:139], v[204:205], off offset:1456
	global_load_dwordx4 v[124:127], v[124:125], off offset:928
	global_load_dwordx4 v[132:135], v[204:205], off offset:1472
	global_load_dwordx4 v[128:131], v[140:141], off offset:16
	v_add_co_u32 v152, vcc_lo, 0x11a0, v204
	v_add_co_ci_u32_e32 v153, vcc_lo, 0, v205, vcc_lo
	s_clause 0x3
	global_load_dwordx4 v[148:151], v[140:141], off offset:32
	global_load_dwordx4 v[144:147], v[142:143], off offset:416
	global_load_dwordx4 v[140:143], v[152:153], off offset:16
	global_load_dwordx4 v[152:155], v[152:153], off offset:32
	ds_read_b128 v[178:181], v159 offset:1536
	ds_read_b128 v[182:185], v159 offset:3072
	;; [unrolled: 1-line block ×10, first 2 shown]
	s_waitcnt vmcnt(8) lgkmcnt(9)
	v_mul_f64 v[218:219], v[180:181], v[118:119]
	v_mul_f64 v[220:221], v[178:179], v[118:119]
	s_waitcnt vmcnt(7) lgkmcnt(8)
	v_mul_f64 v[222:223], v[184:185], v[138:139]
	v_mul_f64 v[224:225], v[182:183], v[138:139]
	;; [unrolled: 3-line block ×3, first 2 shown]
	s_waitcnt lgkmcnt(6)
	v_mul_f64 v[230:231], v[192:193], v[126:127]
	v_mul_f64 v[232:233], v[190:191], v[126:127]
	s_waitcnt vmcnt(4) lgkmcnt(5)
	v_mul_f64 v[234:235], v[196:197], v[130:131]
	v_mul_f64 v[236:237], v[194:195], v[130:131]
	s_waitcnt vmcnt(3) lgkmcnt(4)
	;; [unrolled: 3-line block ×5, first 2 shown]
	v_mul_f64 v[250:251], v[216:217], v[154:155]
	v_mul_f64 v[252:253], v[214:215], v[154:155]
	v_fma_f64 v[218:219], v[178:179], v[116:117], -v[218:219]
	v_fma_f64 v[220:221], v[180:181], v[116:117], v[220:221]
	v_fma_f64 v[222:223], v[182:183], v[136:137], -v[222:223]
	v_fma_f64 v[224:225], v[184:185], v[136:137], v[224:225]
	;; [unrolled: 2-line block ×3, first 2 shown]
	ds_read_b128 v[178:181], v159
	ds_read_b128 v[182:185], v159 offset:512
	v_fma_f64 v[190:191], v[190:191], v[124:125], -v[230:231]
	v_fma_f64 v[192:193], v[192:193], v[124:125], v[232:233]
	v_fma_f64 v[194:195], v[194:195], v[128:129], -v[234:235]
	v_fma_f64 v[196:197], v[196:197], v[128:129], v[236:237]
	;; [unrolled: 2-line block ×6, first 2 shown]
	s_waitcnt lgkmcnt(1)
	v_add_f64 v[222:223], v[178:179], -v[222:223]
	v_add_f64 v[224:225], v[180:181], -v[224:225]
	;; [unrolled: 1-line block ×4, first 2 shown]
	s_waitcnt lgkmcnt(0)
	v_add_f64 v[226:227], v[182:183], -v[194:195]
	v_add_f64 v[228:229], v[184:185], -v[196:197]
	;; [unrolled: 1-line block ×8, first 2 shown]
	v_fma_f64 v[208:209], v[178:179], 2.0, -v[222:223]
	v_fma_f64 v[214:215], v[180:181], 2.0, -v[224:225]
	v_fma_f64 v[200:201], v[218:219], 2.0, -v[186:187]
	v_fma_f64 v[216:217], v[220:221], 2.0, -v[188:189]
	v_add_f64 v[178:179], v[222:223], -v[188:189]
	v_add_f64 v[180:181], v[224:225], v[186:187]
	v_fma_f64 v[218:219], v[182:183], 2.0, -v[226:227]
	v_fma_f64 v[220:221], v[184:185], 2.0, -v[228:229]
	v_fma_f64 v[190:191], v[190:191], 2.0, -v[194:195]
	v_fma_f64 v[192:193], v[192:193], 2.0, -v[196:197]
	v_add_f64 v[186:187], v[226:227], -v[196:197]
	v_add_f64 v[188:189], v[228:229], v[194:195]
	;; [unrolled: 6-line block ×3, first 2 shown]
	v_add_f64 v[182:183], v[208:209], -v[200:201]
	v_add_f64 v[184:185], v[214:215], -v[216:217]
	;; [unrolled: 1-line block ×4, first 2 shown]
	v_fma_f64 v[210:211], v[226:227], 2.0, -v[186:187]
	v_fma_f64 v[212:213], v[228:229], 2.0, -v[188:189]
	v_add_f64 v[198:199], v[234:235], -v[202:203]
	v_add_f64 v[200:201], v[236:237], -v[204:205]
	v_fma_f64 v[202:203], v[222:223], 2.0, -v[178:179]
	v_fma_f64 v[204:205], v[224:225], 2.0, -v[180:181]
	;; [unrolled: 1-line block ×10, first 2 shown]
	ds_write_b128 v159, v[202:205] offset:1536
	ds_write_b128 v159, v[206:209]
	ds_write_b128 v158, v[182:185] offset:3072
	ds_write_b128 v158, v[178:181] offset:4608
	;; [unrolled: 1-line block ×10, first 2 shown]
	s_waitcnt lgkmcnt(0)
	s_barrier
	buffer_gl0_inv
	s_clause 0x7
	global_load_dwordx4 v[178:181], v160, s[12:13]
	global_load_dwordx4 v[182:185], v160, s[12:13] offset:1024
	global_load_dwordx4 v[186:189], v161, s[12:13]
	global_load_dwordx4 v[190:193], v162, s[12:13]
	;; [unrolled: 1-line block ×4, first 2 shown]
	global_load_dwordx4 v[202:205], v160, s[12:13] offset:512
	global_load_dwordx4 v[160:163], v160, s[12:13] offset:1536
	ds_read_b128 v[206:209], v159
	ds_read_b128 v[210:213], v159 offset:1024
	global_load_dwordx4 v[214:217], v168, s[12:13]
	s_waitcnt vmcnt(8) lgkmcnt(1)
	v_mul_f64 v[218:219], v[208:209], v[180:181]
	v_mul_f64 v[180:181], v[206:207], v[180:181]
	s_waitcnt vmcnt(7) lgkmcnt(0)
	v_mul_f64 v[220:221], v[212:213], v[184:185]
	v_mul_f64 v[184:185], v[210:211], v[184:185]
	v_fma_f64 v[206:207], v[206:207], v[178:179], -v[218:219]
	v_fma_f64 v[208:209], v[208:209], v[178:179], v[180:181]
	v_fma_f64 v[178:179], v[210:211], v[182:183], -v[220:221]
	v_fma_f64 v[180:181], v[212:213], v[182:183], v[184:185]
	ds_write_b128 v159, v[206:209]
	ds_write_b128 v159, v[178:181] offset:1024
	ds_read_b128 v[178:181], v158 offset:2048
	global_load_dwordx4 v[182:185], v167, s[12:13]
	s_waitcnt vmcnt(7) lgkmcnt(0)
	v_mul_f64 v[206:207], v[180:181], v[188:189]
	v_mul_f64 v[188:189], v[178:179], v[188:189]
	v_fma_f64 v[178:179], v[178:179], v[186:187], -v[206:207]
	v_fma_f64 v[180:181], v[180:181], v[186:187], v[188:189]
	ds_write_b128 v158, v[178:181] offset:2048
	ds_read_b128 v[178:181], v159 offset:3072
	s_clause 0x1
	global_load_dwordx4 v[165:168], v165, s[12:13]
	global_load_dwordx4 v[186:189], v164, s[12:13]
	s_waitcnt vmcnt(8) lgkmcnt(0)
	v_mul_f64 v[206:207], v[180:181], v[192:193]
	v_mul_f64 v[192:193], v[178:179], v[192:193]
	v_fma_f64 v[178:179], v[178:179], v[190:191], -v[206:207]
	v_fma_f64 v[180:181], v[180:181], v[190:191], v[192:193]
	ds_write_b128 v159, v[178:181] offset:3072
	ds_read_b128 v[178:181], v158 offset:4096
	ds_read_b128 v[190:193], v158 offset:5120
	s_waitcnt vmcnt(7) lgkmcnt(1)
	v_mul_f64 v[206:207], v[180:181], v[196:197]
	v_mul_f64 v[196:197], v[178:179], v[196:197]
	s_waitcnt vmcnt(6) lgkmcnt(0)
	v_mul_f64 v[208:209], v[192:193], v[200:201]
	v_mul_f64 v[200:201], v[190:191], v[200:201]
	v_fma_f64 v[178:179], v[178:179], v[194:195], -v[206:207]
	v_fma_f64 v[180:181], v[180:181], v[194:195], v[196:197]
	v_fma_f64 v[190:191], v[190:191], v[198:199], -v[208:209]
	v_fma_f64 v[192:193], v[192:193], v[198:199], v[200:201]
	ds_write_b128 v158, v[178:181] offset:4096
	ds_write_b128 v158, v[190:193] offset:5120
	ds_read_b128 v[178:181], v159 offset:512
	ds_read_b128 v[190:193], v159 offset:1536
	s_waitcnt vmcnt(5) lgkmcnt(1)
	v_mul_f64 v[194:195], v[180:181], v[204:205]
	v_mul_f64 v[196:197], v[178:179], v[204:205]
	s_waitcnt vmcnt(4) lgkmcnt(0)
	v_mul_f64 v[198:199], v[192:193], v[162:163]
	v_mul_f64 v[162:163], v[190:191], v[162:163]
	v_fma_f64 v[178:179], v[178:179], v[202:203], -v[194:195]
	v_fma_f64 v[180:181], v[180:181], v[202:203], v[196:197]
	v_fma_f64 v[190:191], v[190:191], v[160:161], -v[198:199]
	v_fma_f64 v[192:193], v[192:193], v[160:161], v[162:163]
	ds_write_b128 v159, v[178:181] offset:512
	ds_write_b128 v159, v[190:193] offset:1536
	ds_read_b128 v[160:163], v158 offset:2560
	s_waitcnt vmcnt(3) lgkmcnt(0)
	v_mul_f64 v[178:179], v[162:163], v[216:217]
	v_mul_f64 v[180:181], v[160:161], v[216:217]
	v_fma_f64 v[160:161], v[160:161], v[214:215], -v[178:179]
	v_fma_f64 v[162:163], v[162:163], v[214:215], v[180:181]
	ds_write_b128 v158, v[160:163] offset:2560
	ds_read_b128 v[160:163], v159 offset:3584
	s_waitcnt vmcnt(2) lgkmcnt(0)
	v_mul_f64 v[178:179], v[162:163], v[184:185]
	v_mul_f64 v[180:181], v[160:161], v[184:185]
	v_fma_f64 v[160:161], v[160:161], v[182:183], -v[178:179]
	v_fma_f64 v[162:163], v[162:163], v[182:183], v[180:181]
	ds_write_b128 v159, v[160:163] offset:3584
	ds_read_b128 v[160:163], v158 offset:4608
	ds_read_b128 v[178:181], v158 offset:5632
	s_waitcnt vmcnt(1) lgkmcnt(1)
	v_mul_f64 v[182:183], v[162:163], v[167:168]
	v_mul_f64 v[167:168], v[160:161], v[167:168]
	s_waitcnt vmcnt(0) lgkmcnt(0)
	v_mul_f64 v[184:185], v[180:181], v[188:189]
	v_mul_f64 v[188:189], v[178:179], v[188:189]
	v_fma_f64 v[160:161], v[160:161], v[165:166], -v[182:183]
	v_fma_f64 v[162:163], v[162:163], v[165:166], v[167:168]
	v_fma_f64 v[164:165], v[178:179], v[186:187], -v[184:185]
	v_fma_f64 v[166:167], v[180:181], v[186:187], v[188:189]
	ds_write_b128 v158, v[160:163] offset:4608
	ds_write_b128 v158, v[164:167] offset:5632
	s_waitcnt lgkmcnt(0)
	s_barrier
	buffer_gl0_inv
	ds_read_b128 v[160:163], v158 offset:5120
	ds_read_b128 v[164:167], v159 offset:3072
	;; [unrolled: 1-line block ×6, first 2 shown]
	ds_read_b128 v[194:197], v159
	ds_read_b128 v[198:201], v158 offset:2048
	ds_read_b128 v[202:205], v158 offset:4096
	s_waitcnt lgkmcnt(7)
	v_add_f64 v[206:207], v[166:167], v[162:163]
	v_add_f64 v[218:219], v[164:165], v[160:161]
	s_waitcnt lgkmcnt(5)
	v_add_f64 v[214:215], v[180:181], v[184:185]
	v_add_f64 v[220:221], v[164:165], -v[160:161]
	v_add_f64 v[224:225], v[178:179], v[182:183]
	v_add_f64 v[226:227], v[178:179], -v[182:183]
	s_waitcnt lgkmcnt(1)
	v_add_f64 v[230:231], v[194:195], v[198:199]
	v_add_f64 v[232:233], v[196:197], v[200:201]
	s_waitcnt lgkmcnt(0)
	v_add_f64 v[234:235], v[198:199], v[202:203]
	v_add_f64 v[236:237], v[200:201], -v[204:205]
	v_add_f64 v[200:201], v[200:201], v[204:205]
	v_add_f64 v[238:239], v[166:167], -v[162:163]
	v_add_f64 v[164:165], v[186:187], v[164:165]
	v_add_f64 v[166:167], v[188:189], v[166:167]
	v_add_f64 v[198:199], v[198:199], -v[202:203]
	v_add_f64 v[178:179], v[190:191], v[178:179]
	v_fma_f64 v[222:223], v[206:207], -0.5, v[188:189]
	ds_read_b128 v[206:209], v158 offset:2560
	ds_read_b128 v[210:213], v158 offset:4608
	v_fma_f64 v[228:229], v[214:215], -0.5, v[192:193]
	v_fma_f64 v[218:219], v[218:219], -0.5, v[186:187]
	ds_read_b128 v[214:217], v159 offset:512
	v_fma_f64 v[224:225], v[224:225], -0.5, v[190:191]
	v_add_f64 v[190:191], v[230:231], v[202:203]
	s_waitcnt lgkmcnt(0)
	v_fma_f64 v[194:195], v[234:235], -0.5, v[194:195]
	s_barrier
	v_fma_f64 v[196:197], v[200:201], -0.5, v[196:197]
	buffer_gl0_inv
	v_add_f64 v[164:165], v[164:165], v[160:161]
	v_add_f64 v[166:167], v[166:167], v[162:163]
	v_add_f64 v[182:183], v[178:179], v[182:183]
	v_add_f64 v[242:243], v[206:207], v[210:211]
	v_fma_f64 v[240:241], v[220:221], s[6:7], v[222:223]
	v_fma_f64 v[186:187], v[220:221], s[8:9], v[222:223]
	v_add_f64 v[220:221], v[208:209], v[212:213]
	v_add_f64 v[222:223], v[180:181], -v[184:185]
	v_fma_f64 v[244:245], v[226:227], s[6:7], v[228:229]
	v_fma_f64 v[226:227], v[226:227], s[8:9], v[228:229]
	v_add_f64 v[188:189], v[214:215], v[206:207]
	v_add_f64 v[228:229], v[216:217], v[208:209]
	;; [unrolled: 1-line block ×4, first 2 shown]
	v_fma_f64 v[200:201], v[238:239], s[8:9], v[218:219]
	v_fma_f64 v[218:219], v[238:239], s[6:7], v[218:219]
	v_add_f64 v[208:209], v[208:209], -v[212:213]
	v_add_f64 v[206:207], v[206:207], -v[210:211]
	v_add_f64 v[160:161], v[190:191], v[164:165]
	v_add_f64 v[164:165], v[190:191], -v[164:165]
	v_fma_f64 v[214:215], v[242:243], -0.5, v[214:215]
	v_mul_f64 v[202:203], v[240:241], s[8:9]
	v_mul_f64 v[204:205], v[240:241], 0.5
	v_mul_f64 v[230:231], v[186:187], s[8:9]
	v_mul_f64 v[186:187], v[186:187], -0.5
	v_fma_f64 v[216:217], v[220:221], -0.5, v[216:217]
	v_fma_f64 v[220:221], v[222:223], s[8:9], v[224:225]
	v_mul_f64 v[232:233], v[244:245], s[8:9]
	v_mul_f64 v[234:235], v[244:245], 0.5
	v_fma_f64 v[222:223], v[222:223], s[6:7], v[224:225]
	v_mul_f64 v[224:225], v[226:227], s[8:9]
	v_mul_f64 v[226:227], v[226:227], -0.5
	v_add_f64 v[188:189], v[188:189], v[210:211]
	v_add_f64 v[210:211], v[228:229], v[212:213]
	v_fma_f64 v[212:213], v[236:237], s[8:9], v[194:195]
	v_fma_f64 v[228:229], v[198:199], s[6:7], v[196:197]
	;; [unrolled: 1-line block ×3, first 2 shown]
	v_add_f64 v[184:185], v[180:181], v[184:185]
	v_add_f64 v[162:163], v[192:193], v[166:167]
	v_add_f64 v[166:167], v[192:193], -v[166:167]
	v_fma_f64 v[238:239], v[208:209], s[8:9], v[214:215]
	v_fma_f64 v[194:195], v[200:201], 0.5, v[202:203]
	v_fma_f64 v[200:201], v[200:201], s[6:7], v[204:205]
	v_fma_f64 v[202:203], v[198:199], s[8:9], v[196:197]
	v_fma_f64 v[198:199], v[218:219], -0.5, v[230:231]
	v_fma_f64 v[204:205], v[218:219], s[6:7], v[186:187]
	v_fma_f64 v[218:219], v[206:207], s[6:7], v[216:217]
	;; [unrolled: 1-line block ×3, first 2 shown]
	v_fma_f64 v[208:209], v[220:221], 0.5, v[232:233]
	v_fma_f64 v[220:221], v[220:221], s[6:7], v[234:235]
	v_fma_f64 v[216:217], v[206:207], s[8:9], v[216:217]
	v_fma_f64 v[224:225], v[222:223], -0.5, v[224:225]
	v_fma_f64 v[222:223], v[222:223], s[6:7], v[226:227]
	v_add_f64 v[178:179], v[188:189], v[182:183]
	v_add_f64 v[182:183], v[188:189], -v[182:183]
	v_add_f64 v[180:181], v[210:211], v[184:185]
	v_add_f64 v[184:185], v[210:211], -v[184:185]
	v_add_f64 v[186:187], v[212:213], v[194:195]
	v_add_f64 v[188:189], v[228:229], v[200:201]
	v_add_f64 v[190:191], v[212:213], -v[194:195]
	v_add_f64 v[194:195], v[236:237], v[198:199]
	v_add_f64 v[196:197], v[202:203], v[204:205]
	v_add_f64 v[192:193], v[228:229], -v[200:201]
	v_add_f64 v[198:199], v[236:237], -v[198:199]
	v_add_f64 v[200:201], v[202:203], -v[204:205]
	v_add_f64 v[202:203], v[238:239], v[208:209]
	v_add_f64 v[204:205], v[218:219], v[220:221]
	;; [unrolled: 1-line block ×4, first 2 shown]
	v_add_f64 v[206:207], v[238:239], -v[208:209]
	v_add_f64 v[208:209], v[218:219], -v[220:221]
	;; [unrolled: 1-line block ×4, first 2 shown]
	ds_write_b128 v169, v[160:163]
	ds_write_b128 v169, v[164:167] offset:48
	ds_write_b128 v169, v[186:189] offset:16
	;; [unrolled: 1-line block ×5, first 2 shown]
	ds_write_b128 v170, v[178:181]
	ds_write_b128 v170, v[202:205] offset:16
	ds_write_b128 v170, v[210:213] offset:32
	;; [unrolled: 1-line block ×5, first 2 shown]
	s_waitcnt lgkmcnt(0)
	s_barrier
	buffer_gl0_inv
	ds_read_b128 v[160:163], v159 offset:1536
	ds_read_b128 v[164:167], v159 offset:3072
	;; [unrolled: 1-line block ×10, first 2 shown]
	ds_read_b128 v[210:213], v159
	ds_read_b128 v[214:217], v159 offset:512
	s_waitcnt lgkmcnt(0)
	s_barrier
	buffer_gl0_inv
	v_mul_f64 v[168:169], v[70:71], v[162:163]
	v_mul_f64 v[70:71], v[70:71], v[160:161]
	;; [unrolled: 1-line block ×18, first 2 shown]
	v_fma_f64 v[160:161], v[68:69], v[160:161], v[168:169]
	v_fma_f64 v[68:69], v[68:69], v[162:163], -v[70:71]
	v_fma_f64 v[70:71], v[64:65], v[164:165], v[218:219]
	v_fma_f64 v[64:65], v[64:65], v[166:167], -v[66:67]
	;; [unrolled: 2-line block ×9, first 2 shown]
	v_add_f64 v[74:75], v[210:211], -v[70:71]
	v_add_f64 v[162:163], v[212:213], -v[64:65]
	;; [unrolled: 1-line block ×12, first 2 shown]
	v_fma_f64 v[78:79], v[210:211], 2.0, -v[74:75]
	v_fma_f64 v[82:83], v[212:213], 2.0, -v[162:163]
	;; [unrolled: 1-line block ×12, first 2 shown]
	v_add_f64 v[48:49], v[74:75], v[58:59]
	v_add_f64 v[50:51], v[162:163], -v[52:53]
	v_add_f64 v[52:53], v[164:165], v[60:61]
	v_add_f64 v[54:55], v[166:167], -v[54:55]
	;; [unrolled: 2-line block ×3, first 2 shown]
	v_add_f64 v[56:57], v[78:79], -v[70:71]
	v_add_f64 v[58:59], v[82:83], -v[68:69]
	;; [unrolled: 1-line block ×6, first 2 shown]
	v_fma_f64 v[72:73], v[74:75], 2.0, -v[48:49]
	v_fma_f64 v[74:75], v[162:163], 2.0, -v[50:51]
	;; [unrolled: 1-line block ×12, first 2 shown]
	ds_write_b128 v173, v[48:51] offset:288
	ds_write_b128 v173, v[72:75] offset:96
	;; [unrolled: 1-line block ×3, first 2 shown]
	ds_write_b128 v173, v[80:83]
	ds_write_b128 v172, v[160:163]
	ds_write_b128 v172, v[76:79] offset:96
	ds_write_b128 v172, v[60:63] offset:192
	;; [unrolled: 1-line block ×3, first 2 shown]
	ds_write_b128 v171, v[178:181]
	ds_write_b128 v171, v[164:167] offset:96
	ds_write_b128 v171, v[68:71] offset:192
	;; [unrolled: 1-line block ×3, first 2 shown]
	s_waitcnt lgkmcnt(0)
	s_barrier
	buffer_gl0_inv
	ds_read_b128 v[48:51], v159 offset:1536
	ds_read_b128 v[52:55], v159 offset:3072
	;; [unrolled: 1-line block ×10, first 2 shown]
	ds_read_b128 v[164:167], v159
	ds_read_b128 v[168:171], v159 offset:512
	s_waitcnt lgkmcnt(0)
	s_barrier
	buffer_gl0_inv
	v_mul_f64 v[172:173], v[106:107], v[50:51]
	v_mul_f64 v[106:107], v[106:107], v[48:49]
	;; [unrolled: 1-line block ×18, first 2 shown]
	v_fma_f64 v[48:49], v[104:105], v[48:49], v[172:173]
	v_fma_f64 v[50:51], v[104:105], v[50:51], -v[106:107]
	v_fma_f64 v[52:53], v[100:101], v[52:53], v[178:179]
	v_fma_f64 v[54:55], v[100:101], v[54:55], -v[102:103]
	;; [unrolled: 2-line block ×9, first 2 shown]
	v_add_f64 v[84:85], v[164:165], -v[52:53]
	v_add_f64 v[86:87], v[166:167], -v[54:55]
	;; [unrolled: 1-line block ×12, first 2 shown]
	v_fma_f64 v[76:77], v[164:165], 2.0, -v[84:85]
	v_fma_f64 v[78:79], v[166:167], 2.0, -v[86:87]
	;; [unrolled: 1-line block ×4, first 2 shown]
	v_add_f64 v[48:49], v[84:85], v[52:53]
	v_fma_f64 v[82:83], v[168:169], 2.0, -v[88:89]
	v_fma_f64 v[94:95], v[170:171], 2.0, -v[90:91]
	;; [unrolled: 1-line block ×4, first 2 shown]
	v_add_f64 v[58:59], v[90:91], -v[58:59]
	v_fma_f64 v[98:99], v[160:161], 2.0, -v[92:93]
	v_fma_f64 v[100:101], v[162:163], 2.0, -v[96:97]
	;; [unrolled: 1-line block ×4, first 2 shown]
	v_add_f64 v[66:67], v[96:97], -v[66:67]
	v_add_f64 v[52:53], v[76:77], -v[54:55]
	;; [unrolled: 1-line block ×4, first 2 shown]
	v_add_f64 v[56:57], v[88:89], v[64:65]
	v_add_f64 v[64:65], v[92:93], v[68:69]
	v_add_f64 v[60:61], v[82:83], -v[60:61]
	v_add_f64 v[62:63], v[94:95], -v[62:63]
	;; [unrolled: 1-line block ×4, first 2 shown]
	v_fma_f64 v[72:73], v[84:85], 2.0, -v[48:49]
	v_fma_f64 v[76:77], v[76:77], 2.0, -v[52:53]
	;; [unrolled: 1-line block ×10, first 2 shown]
	v_mad_u64_u32 v[96:97], null, s2, v156, 0
	v_fma_f64 v[92:93], v[98:99], 2.0, -v[68:69]
	v_fma_f64 v[94:95], v[100:101], 2.0, -v[70:71]
	ds_write_b128 v175, v[76:79]
	ds_write_b128 v174, v[72:75] offset:384
	ds_write_b128 v174, v[52:55] offset:768
	ds_write_b128 v174, v[48:51] offset:1152
	ds_write_b128 v177, v[84:87]
	ds_write_b128 v177, v[80:83] offset:384
	ds_write_b128 v177, v[60:63] offset:768
	ds_write_b128 v177, v[56:59] offset:1152
	;; [unrolled: 4-line block ×3, first 2 shown]
	s_waitcnt lgkmcnt(0)
	s_barrier
	buffer_gl0_inv
	ds_read_b128 v[48:51], v159 offset:1536
	ds_read_b128 v[52:55], v159 offset:3072
	;; [unrolled: 1-line block ×9, first 2 shown]
	v_mad_u64_u32 v[98:99], null, s0, v157, 0
	v_mov_b32_e32 v88, v97
	ds_read_b128 v[84:87], v159 offset:1024
	v_mov_b32_e32 v97, v99
	s_waitcnt lgkmcnt(9)
	v_mul_f64 v[99:100], v[118:119], v[50:51]
	v_mul_f64 v[101:102], v[118:119], v[48:49]
	s_waitcnt lgkmcnt(8)
	v_mul_f64 v[103:104], v[138:139], v[54:55]
	v_mul_f64 v[105:106], v[138:139], v[52:53]
	;; [unrolled: 3-line block ×9, first 2 shown]
	v_mad_u64_u32 v[154:155], null, s3, v156, v[88:89]
	ds_read_b128 v[88:91], v159
	ds_read_b128 v[92:95], v159 offset:512
	s_load_dwordx2 s[2:3], s[4:5], 0x38
	v_fma_f64 v[48:49], v[116:117], v[48:49], v[99:100]
	v_fma_f64 v[50:51], v[116:117], v[50:51], -v[101:102]
	v_fma_f64 v[52:53], v[136:137], v[52:53], v[103:104]
	v_fma_f64 v[54:55], v[136:137], v[54:55], -v[105:106]
	;; [unrolled: 2-line block ×9, first 2 shown]
	v_mad_u64_u32 v[99:100], null, s1, v157, v[97:98]
	v_mov_b32_e32 v97, v154
	s_waitcnt lgkmcnt(0)
	v_add_f64 v[100:101], v[88:89], -v[52:53]
	v_add_f64 v[102:103], v[90:91], -v[54:55]
	;; [unrolled: 1-line block ×4, first 2 shown]
	v_lshlrev_b64 v[96:97], 4, v[96:97]
	v_lshlrev_b64 v[58:59], 4, v[98:99]
	v_add_f64 v[104:105], v[92:93], -v[64:65]
	v_add_f64 v[106:107], v[94:95], -v[66:67]
	;; [unrolled: 1-line block ×4, first 2 shown]
	v_add_co_u32 v70, vcc_lo, s2, v96
	v_add_f64 v[108:109], v[84:85], -v[76:77]
	v_add_f64 v[110:111], v[86:87], -v[78:79]
	;; [unrolled: 1-line block ×4, first 2 shown]
	v_add_co_ci_u32_e32 v71, vcc_lo, s3, v97, vcc_lo
	v_add_co_u32 v96, vcc_lo, v70, v58
	s_lshl_b64 s[2:3], s[0:1], 10
	v_add_co_ci_u32_e32 v97, vcc_lo, v71, v59, vcc_lo
	v_fma_f64 v[78:79], v[88:89], 2.0, -v[100:101]
	v_fma_f64 v[82:83], v[90:91], 2.0, -v[102:103]
	v_fma_f64 v[58:59], v[48:49], 2.0, -v[52:53]
	v_fma_f64 v[70:71], v[50:51], 2.0, -v[54:55]
	v_add_f64 v[48:49], v[100:101], v[54:55]
	v_fma_f64 v[88:89], v[92:93], 2.0, -v[104:105]
	v_fma_f64 v[90:91], v[94:95], 2.0, -v[106:107]
	;; [unrolled: 1-line block ×4, first 2 shown]
	v_add_f64 v[50:51], v[102:103], -v[52:53]
	v_add_f64 v[52:53], v[104:105], v[56:57]
	v_fma_f64 v[92:93], v[84:85], 2.0, -v[108:109]
	v_fma_f64 v[94:95], v[86:87], 2.0, -v[110:111]
	;; [unrolled: 1-line block ×4, first 2 shown]
	v_add_f64 v[54:55], v[106:107], -v[64:65]
	v_add_f64 v[64:65], v[108:109], v[68:69]
	v_add_f64 v[66:67], v[110:111], -v[66:67]
	v_add_co_u32 v98, vcc_lo, v96, s2
	v_add_co_ci_u32_e32 v99, vcc_lo, s3, v97, vcc_lo
	s_mulk_i32 s1, 0xee00
	v_add_co_u32 v112, vcc_lo, v98, s2
	v_add_f64 v[56:57], v[78:79], -v[58:59]
	v_add_f64 v[58:59], v[82:83], -v[70:71]
	v_add_co_ci_u32_e32 v113, vcc_lo, s3, v99, vcc_lo
	v_add_f64 v[60:61], v[88:89], -v[60:61]
	v_add_f64 v[62:63], v[90:91], -v[62:63]
	v_add_co_u32 v114, vcc_lo, v112, s2
	v_fma_f64 v[76:77], v[104:105], 2.0, -v[52:53]
	v_add_co_ci_u32_e32 v115, vcc_lo, s3, v113, vcc_lo
	v_add_f64 v[68:69], v[92:93], -v[72:73]
	v_add_f64 v[70:71], v[94:95], -v[74:75]
	v_fma_f64 v[72:73], v[100:101], 2.0, -v[48:49]
	v_fma_f64 v[74:75], v[102:103], 2.0, -v[50:51]
	v_add_co_u32 v116, vcc_lo, v114, s2
	v_add_co_ci_u32_e32 v117, vcc_lo, s3, v115, vcc_lo
	s_sub_i32 s4, s1, s0
	v_add_co_u32 v118, vcc_lo, v116, s2
	v_fma_f64 v[80:81], v[78:79], 2.0, -v[56:57]
	v_fma_f64 v[82:83], v[82:83], 2.0, -v[58:59]
	;; [unrolled: 1-line block ×3, first 2 shown]
	v_add_co_ci_u32_e32 v119, vcc_lo, s3, v117, vcc_lo
	v_fma_f64 v[84:85], v[88:89], 2.0, -v[60:61]
	v_fma_f64 v[86:87], v[90:91], 2.0, -v[62:63]
	;; [unrolled: 1-line block ×4, first 2 shown]
	v_mad_u64_u32 v[100:101], null, 0xffffee00, s0, v[118:119]
	v_fma_f64 v[92:93], v[92:93], 2.0, -v[68:69]
	v_fma_f64 v[94:95], v[94:95], 2.0, -v[70:71]
	ds_write_b128 v159, v[72:75] offset:1536
	ds_write_b128 v159, v[56:59] offset:3072
	ds_write_b128 v159, v[80:83]
	ds_write_b128 v158, v[48:51] offset:4608
	ds_write_b128 v159, v[84:87] offset:512
	;; [unrolled: 1-line block ×9, first 2 shown]
	s_waitcnt lgkmcnt(0)
	s_barrier
	buffer_gl0_inv
	ds_read_b128 v[48:51], v159
	ds_read_b128 v[52:55], v159 offset:1024
	ds_read_b128 v[56:59], v158 offset:2048
	;; [unrolled: 1-line block ×11, first 2 shown]
	s_mov_b32 s0, 0x55555555
	v_add_nc_u32_e32 v101, s4, v101
	s_mov_b32 s1, 0x3f655555
	v_add_co_u32 v102, vcc_lo, v100, s2
	v_add_co_ci_u32_e32 v103, vcc_lo, s3, v101, vcc_lo
	v_add_co_u32 v104, vcc_lo, v102, s2
	v_add_co_ci_u32_e32 v105, vcc_lo, s3, v103, vcc_lo
	s_waitcnt lgkmcnt(11)
	v_mul_f64 v[106:107], v[34:35], v[50:51]
	v_mul_f64 v[34:35], v[34:35], v[48:49]
	s_waitcnt lgkmcnt(10)
	v_mul_f64 v[108:109], v[38:39], v[54:55]
	v_mul_f64 v[38:39], v[38:39], v[52:53]
	;; [unrolled: 3-line block ×12, first 2 shown]
	v_fma_f64 v[48:49], v[32:33], v[48:49], v[106:107]
	v_fma_f64 v[32:33], v[32:33], v[50:51], -v[34:35]
	v_fma_f64 v[34:35], v[36:37], v[52:53], v[108:109]
	v_fma_f64 v[36:37], v[36:37], v[54:55], -v[38:39]
	;; [unrolled: 2-line block ×12, first 2 shown]
	v_mul_f64 v[0:1], v[48:49], s[0:1]
	v_mul_f64 v[2:3], v[32:33], s[0:1]
	;; [unrolled: 1-line block ×22, first 2 shown]
	v_add_co_u32 v48, vcc_lo, v104, s2
	v_mul_f64 v[44:45], v[82:83], s[0:1]
	v_mul_f64 v[46:47], v[46:47], s[0:1]
	v_add_co_ci_u32_e32 v49, vcc_lo, s3, v105, vcc_lo
	v_add_co_u32 v50, vcc_lo, v48, s2
	v_add_co_ci_u32_e32 v51, vcc_lo, s3, v49, vcc_lo
	v_add_co_u32 v52, vcc_lo, v50, s2
	v_add_co_ci_u32_e32 v53, vcc_lo, s3, v51, vcc_lo
	global_store_dwordx4 v[96:97], v[0:3], off
	global_store_dwordx4 v[98:99], v[4:7], off
	;; [unrolled: 1-line block ×12, first 2 shown]
.LBB0_2:
	s_endpgm
	.section	.rodata,"a",@progbits
	.p2align	6, 0x0
	.amdhsa_kernel bluestein_single_back_len384_dim1_dp_op_CI_CI
		.amdhsa_group_segment_fixed_size 24576
		.amdhsa_private_segment_fixed_size 0
		.amdhsa_kernarg_size 104
		.amdhsa_user_sgpr_count 6
		.amdhsa_user_sgpr_private_segment_buffer 1
		.amdhsa_user_sgpr_dispatch_ptr 0
		.amdhsa_user_sgpr_queue_ptr 0
		.amdhsa_user_sgpr_kernarg_segment_ptr 1
		.amdhsa_user_sgpr_dispatch_id 0
		.amdhsa_user_sgpr_flat_scratch_init 0
		.amdhsa_user_sgpr_private_segment_size 0
		.amdhsa_wavefront_size32 1
		.amdhsa_uses_dynamic_stack 0
		.amdhsa_system_sgpr_private_segment_wavefront_offset 0
		.amdhsa_system_sgpr_workgroup_id_x 1
		.amdhsa_system_sgpr_workgroup_id_y 0
		.amdhsa_system_sgpr_workgroup_id_z 0
		.amdhsa_system_sgpr_workgroup_info 0
		.amdhsa_system_vgpr_workitem_id 0
		.amdhsa_next_free_vgpr 254
		.amdhsa_next_free_sgpr 20
		.amdhsa_reserve_vcc 1
		.amdhsa_reserve_flat_scratch 0
		.amdhsa_float_round_mode_32 0
		.amdhsa_float_round_mode_16_64 0
		.amdhsa_float_denorm_mode_32 3
		.amdhsa_float_denorm_mode_16_64 3
		.amdhsa_dx10_clamp 1
		.amdhsa_ieee_mode 1
		.amdhsa_fp16_overflow 0
		.amdhsa_workgroup_processor_mode 1
		.amdhsa_memory_ordered 1
		.amdhsa_forward_progress 0
		.amdhsa_shared_vgpr_count 0
		.amdhsa_exception_fp_ieee_invalid_op 0
		.amdhsa_exception_fp_denorm_src 0
		.amdhsa_exception_fp_ieee_div_zero 0
		.amdhsa_exception_fp_ieee_overflow 0
		.amdhsa_exception_fp_ieee_underflow 0
		.amdhsa_exception_fp_ieee_inexact 0
		.amdhsa_exception_int_div_zero 0
	.end_amdhsa_kernel
	.text
.Lfunc_end0:
	.size	bluestein_single_back_len384_dim1_dp_op_CI_CI, .Lfunc_end0-bluestein_single_back_len384_dim1_dp_op_CI_CI
                                        ; -- End function
	.section	.AMDGPU.csdata,"",@progbits
; Kernel info:
; codeLenInByte = 11236
; NumSgprs: 22
; NumVgprs: 254
; ScratchSize: 0
; MemoryBound: 0
; FloatMode: 240
; IeeeMode: 1
; LDSByteSize: 24576 bytes/workgroup (compile time only)
; SGPRBlocks: 2
; VGPRBlocks: 31
; NumSGPRsForWavesPerEU: 22
; NumVGPRsForWavesPerEU: 254
; Occupancy: 4
; WaveLimiterHint : 1
; COMPUTE_PGM_RSRC2:SCRATCH_EN: 0
; COMPUTE_PGM_RSRC2:USER_SGPR: 6
; COMPUTE_PGM_RSRC2:TRAP_HANDLER: 0
; COMPUTE_PGM_RSRC2:TGID_X_EN: 1
; COMPUTE_PGM_RSRC2:TGID_Y_EN: 0
; COMPUTE_PGM_RSRC2:TGID_Z_EN: 0
; COMPUTE_PGM_RSRC2:TIDIG_COMP_CNT: 0
	.text
	.p2alignl 6, 3214868480
	.fill 48, 4, 3214868480
	.type	__hip_cuid_b023fde081a1ea4e,@object ; @__hip_cuid_b023fde081a1ea4e
	.section	.bss,"aw",@nobits
	.globl	__hip_cuid_b023fde081a1ea4e
__hip_cuid_b023fde081a1ea4e:
	.byte	0                               ; 0x0
	.size	__hip_cuid_b023fde081a1ea4e, 1

	.ident	"AMD clang version 19.0.0git (https://github.com/RadeonOpenCompute/llvm-project roc-6.4.0 25133 c7fe45cf4b819c5991fe208aaa96edf142730f1d)"
	.section	".note.GNU-stack","",@progbits
	.addrsig
	.addrsig_sym __hip_cuid_b023fde081a1ea4e
	.amdgpu_metadata
---
amdhsa.kernels:
  - .args:
      - .actual_access:  read_only
        .address_space:  global
        .offset:         0
        .size:           8
        .value_kind:     global_buffer
      - .actual_access:  read_only
        .address_space:  global
        .offset:         8
        .size:           8
        .value_kind:     global_buffer
      - .actual_access:  read_only
        .address_space:  global
        .offset:         16
        .size:           8
        .value_kind:     global_buffer
      - .actual_access:  read_only
        .address_space:  global
        .offset:         24
        .size:           8
        .value_kind:     global_buffer
      - .actual_access:  read_only
        .address_space:  global
        .offset:         32
        .size:           8
        .value_kind:     global_buffer
      - .offset:         40
        .size:           8
        .value_kind:     by_value
      - .address_space:  global
        .offset:         48
        .size:           8
        .value_kind:     global_buffer
      - .address_space:  global
        .offset:         56
        .size:           8
        .value_kind:     global_buffer
      - .address_space:  global
        .offset:         64
        .size:           8
        .value_kind:     global_buffer
      - .address_space:  global
        .offset:         72
        .size:           8
        .value_kind:     global_buffer
      - .offset:         80
        .size:           4
        .value_kind:     by_value
      - .address_space:  global
        .offset:         88
        .size:           8
        .value_kind:     global_buffer
      - .address_space:  global
        .offset:         96
        .size:           8
        .value_kind:     global_buffer
    .group_segment_fixed_size: 24576
    .kernarg_segment_align: 8
    .kernarg_segment_size: 104
    .language:       OpenCL C
    .language_version:
      - 2
      - 0
    .max_flat_workgroup_size: 128
    .name:           bluestein_single_back_len384_dim1_dp_op_CI_CI
    .private_segment_fixed_size: 0
    .sgpr_count:     22
    .sgpr_spill_count: 0
    .symbol:         bluestein_single_back_len384_dim1_dp_op_CI_CI.kd
    .uniform_work_group_size: 1
    .uses_dynamic_stack: false
    .vgpr_count:     254
    .vgpr_spill_count: 0
    .wavefront_size: 32
    .workgroup_processor_mode: 1
amdhsa.target:   amdgcn-amd-amdhsa--gfx1030
amdhsa.version:
  - 1
  - 2
...

	.end_amdgpu_metadata
